;; amdgpu-corpus repo=zjin-lcf/HeCBench kind=compiled arch=gfx1250 opt=O3
	.amdgcn_target "amdgcn-amd-amdhsa--gfx1250"
	.amdhsa_code_object_version 6
	.text
	.protected	_Z17IntegrationKernelPVfS0_S0_S0_S0_ffffi ; -- Begin function _Z17IntegrationKernelPVfS0_S0_S0_S0_ffffi
	.globl	_Z17IntegrationKernelPVfS0_S0_S0_S0_ffffi
	.p2align	8
	.type	_Z17IntegrationKernelPVfS0_S0_S0_S0_ffffi,@function
_Z17IntegrationKernelPVfS0_S0_S0_S0_ffffi: ; @_Z17IntegrationKernelPVfS0_S0_S0_S0_ffffi
; %bb.0:
	s_clause 0x1
	s_load_b32 s2, s[0:1], 0x4c
	s_load_b32 s16, s[0:1], 0x38
	s_bfe_u32 s3, ttmp6, 0x4000c
	s_and_b32 s4, ttmp6, 15
	s_add_co_i32 s3, s3, 1
	s_getreg_b32 s5, hwreg(HW_REG_IB_STS2, 6, 4)
	s_mul_i32 s3, ttmp9, s3
	s_delay_alu instid0(SALU_CYCLE_1) | instskip(SKIP_4) | instid1(SALU_CYCLE_1)
	s_add_co_i32 s4, s4, s3
	s_wait_kmcnt 0x0
	s_and_b32 s2, s2, 0xffff
	s_cmp_eq_u32 s5, 0
	s_cselect_b32 s3, ttmp9, s4
	v_mad_u32 v0, s3, s2, v0
	s_mov_b32 s2, exec_lo
	s_delay_alu instid0(VALU_DEP_1)
	v_cmpx_gt_i32_e64 s16, v0
	s_cbranch_execz .LBB0_2
; %bb.1:
	s_clause 0x1
	s_load_b64 s[2:3], s[0:1], 0x20
	s_load_b256 s[4:11], s[0:1], 0x0
	v_ashrrev_i32_e32 v1, 31, v0
	s_ashr_i32 s17, s16, 31
	s_load_b128 s[12:15], s[0:1], 0x28
	s_wait_xcnt 0x0
	s_lshl_b64 s[0:1], s[16:17], 2
	v_lshlrev_b64_e32 v[8:9], 2, v[0:1]
	s_wait_kmcnt 0x0
	s_delay_alu instid0(VALU_DEP_1)
	v_add_nc_u64_e32 v[2:3], s[2:3], v[8:9]
	v_add_nc_u64_e32 v[4:5], s[10:11], v[8:9]
	;; [unrolled: 1-line block ×10, first 2 shown]
	flat_load_b32 v10, v0, s[2:3] scale_offset scope:SCOPE_SYS
	s_wait_loadcnt 0x0
	flat_load_b32 v6, v[2:3] scope:SCOPE_SYS
	s_wait_loadcnt 0x0
	flat_load_b32 v1, v0, s[10:11] scale_offset scope:SCOPE_SYS
	s_wait_loadcnt 0x0
	flat_load_b32 v7, v[4:5] scope:SCOPE_SYS
	s_wait_loadcnt 0x0
	flat_load_b32 v11, v0, s[6:7] scale_offset scope:SCOPE_SYS
	s_wait_loadcnt 0x0
	flat_load_b32 v16, v0, s[8:9] scale_offset scope:SCOPE_SYS
	s_wait_loadcnt 0x0
	flat_load_b32 v18, v[12:13] scope:SCOPE_SYS
	s_wait_loadcnt 0x0
	flat_load_b32 v19, v[14:15] scope:SCOPE_SYS
	s_wait_loadcnt 0x0
	flat_load_b32 v20, v0, s[4:5] scale_offset scope:SCOPE_SYS
	s_wait_loadcnt_dscnt 0x3
	v_div_scale_f32 v17, null, s13, s13, v16
	v_div_scale_f32 v23, vcc_lo, v16, s13, v16
	s_delay_alu instid0(VALU_DEP_2) | instskip(SKIP_1) | instid1(TRANS32_DEP_1)
	v_rcp_f32_e32 v21, v17
	v_nop
	v_fma_f32 v22, -v17, v21, 1.0
	s_delay_alu instid0(VALU_DEP_1) | instskip(NEXT) | instid1(VALU_DEP_1)
	v_fmac_f32_e32 v21, v22, v21
	v_mul_f32_e32 v22, v23, v21
	s_delay_alu instid0(VALU_DEP_1) | instskip(NEXT) | instid1(VALU_DEP_1)
	v_fma_f32 v24, -v17, v22, v23
	v_fmac_f32_e32 v22, v24, v21
	s_delay_alu instid0(VALU_DEP_1) | instskip(NEXT) | instid1(VALU_DEP_1)
	v_fma_f32 v17, -v17, v22, v23
	v_div_fmas_f32 v17, v17, v21, v22
	s_delay_alu instid0(VALU_DEP_1) | instskip(NEXT) | instid1(VALU_DEP_1)
	v_div_fixup_f32 v16, v17, s13, v16
	v_fma_f32 v17, s15, v11, -v16
	v_add_f32_e32 v11, 0x3e4ccccd, v1
	v_mul_f32_e32 v1, 0x3f4ccccd, v1
	s_delay_alu instid0(VALU_DEP_3) | instskip(NEXT) | instid1(VALU_DEP_1)
	v_xor_b32_e32 v16, v17, v10
	v_cmp_gt_i32_e32 vcc_lo, 0, v16
	s_delay_alu instid0(VALU_DEP_3) | instskip(NEXT) | instid1(VALU_DEP_1)
	v_dual_mov_b32 v16, s14 :: v_dual_cndmask_b32 v1, v1, v11
	v_cmp_ngt_f32_e32 vcc_lo, 0x3c23d70a, v1
	v_cndmask_b32_e32 v1, 0x3c23d70a, v1, vcc_lo
	s_wait_dscnt 0x1
	v_div_scale_f32 v22, vcc_lo, v19, s13, v19
	s_delay_alu instid0(VALU_DEP_2) | instskip(NEXT) | instid1(VALU_DEP_1)
	v_mul_f32_e32 v11, s12, v1
	v_pk_mul_f32 v[10:11], v[16:17], v[10:11]
	v_div_scale_f32 v17, null, s13, s13, v19
	s_delay_alu instid0(VALU_DEP_2) | instskip(SKIP_1) | instid1(VALU_DEP_1)
	v_sub_f32_e32 v10, v10, v11
	s_wait_dscnt 0x0
	v_add_f32_e32 v11, v20, v10
	s_delay_alu instid0(VALU_DEP_3)
	v_rcp_f32_e32 v20, v17
	flat_store_b32 v0, v11, s[4:5] scale_offset scope:SCOPE_SYS
	s_wait_storecnt 0x0
	flat_load_b32 v11, v[8:9] scope:SCOPE_SYS
	s_wait_loadcnt 0x0
	v_nop
	v_fma_f32 v21, -v17, v20, 1.0
	s_delay_alu instid0(VALU_DEP_1) | instskip(NEXT) | instid1(VALU_DEP_1)
	v_fmac_f32_e32 v20, v21, v20
	v_mul_f32_e32 v21, v22, v20
	s_delay_alu instid0(VALU_DEP_1) | instskip(NEXT) | instid1(VALU_DEP_1)
	v_fma_f32 v23, -v17, v21, v22
	v_fmac_f32_e32 v21, v23, v20
	s_delay_alu instid0(VALU_DEP_1) | instskip(NEXT) | instid1(VALU_DEP_1)
	v_fma_f32 v17, -v17, v21, v22
	v_div_fmas_f32 v17, v17, v20, v21
	s_delay_alu instid0(VALU_DEP_1) | instskip(NEXT) | instid1(VALU_DEP_1)
	v_div_fixup_f32 v17, v17, s13, v19
	v_fma_f32 v17, s15, v18, -v17
	v_add_f32_e32 v18, 0x3e4ccccd, v7
	v_mul_f32_e32 v7, 0x3f4ccccd, v7
	s_delay_alu instid0(VALU_DEP_3) | instskip(NEXT) | instid1(VALU_DEP_1)
	v_xor_b32_e32 v19, v17, v6
	v_cmp_gt_i32_e32 vcc_lo, 0, v19
	s_delay_alu instid0(VALU_DEP_3) | instskip(NEXT) | instid1(VALU_DEP_1)
	v_cndmask_b32_e32 v7, v7, v18, vcc_lo
	v_cmp_ngt_f32_e32 vcc_lo, 0x3c23d70a, v7
	v_cndmask_b32_e32 v18, 0x3c23d70a, v7, vcc_lo
	s_delay_alu instid0(VALU_DEP_1) | instskip(NEXT) | instid1(VALU_DEP_1)
	v_mul_f32_e32 v7, s12, v18
	v_pk_mul_f32 v[6:7], v[16:17], v[6:7]
	s_delay_alu instid0(VALU_DEP_1) | instskip(SKIP_1) | instid1(VALU_DEP_1)
	v_sub_f32_e32 v6, v6, v7
	s_wait_dscnt 0x0
	v_dual_add_f32 v7, v11, v6 :: v_dual_mov_b32 v11, 0
	flat_store_b32 v[8:9], v7 scope:SCOPE_SYS
	s_wait_storecnt 0x0
	flat_store_b32 v0, v11, s[6:7] scale_offset scope:SCOPE_SYS
	s_wait_storecnt 0x0
	flat_store_b32 v[12:13], v11 scope:SCOPE_SYS
	s_wait_storecnt 0x0
	flat_store_b32 v0, v11, s[8:9] scale_offset scope:SCOPE_SYS
	s_wait_storecnt 0x0
	;; [unrolled: 4-line block ×4, first 2 shown]
	flat_store_b32 v[4:5], v18 scope:SCOPE_SYS
	s_wait_storecnt 0x0
.LBB0_2:
	s_endpgm
	.section	.rodata,"a",@progbits
	.p2align	6, 0x0
	.amdhsa_kernel _Z17IntegrationKernelPVfS0_S0_S0_S0_ffffi
		.amdhsa_group_segment_fixed_size 0
		.amdhsa_private_segment_fixed_size 0
		.amdhsa_kernarg_size 320
		.amdhsa_user_sgpr_count 2
		.amdhsa_user_sgpr_dispatch_ptr 0
		.amdhsa_user_sgpr_queue_ptr 0
		.amdhsa_user_sgpr_kernarg_segment_ptr 1
		.amdhsa_user_sgpr_dispatch_id 0
		.amdhsa_user_sgpr_kernarg_preload_length 0
		.amdhsa_user_sgpr_kernarg_preload_offset 0
		.amdhsa_user_sgpr_private_segment_size 0
		.amdhsa_wavefront_size32 1
		.amdhsa_uses_dynamic_stack 0
		.amdhsa_enable_private_segment 0
		.amdhsa_system_sgpr_workgroup_id_x 1
		.amdhsa_system_sgpr_workgroup_id_y 0
		.amdhsa_system_sgpr_workgroup_id_z 0
		.amdhsa_system_sgpr_workgroup_info 0
		.amdhsa_system_vgpr_workitem_id 0
		.amdhsa_next_free_vgpr 25
		.amdhsa_next_free_sgpr 18
		.amdhsa_named_barrier_count 0
		.amdhsa_reserve_vcc 1
		.amdhsa_float_round_mode_32 0
		.amdhsa_float_round_mode_16_64 0
		.amdhsa_float_denorm_mode_32 3
		.amdhsa_float_denorm_mode_16_64 3
		.amdhsa_fp16_overflow 0
		.amdhsa_memory_ordered 1
		.amdhsa_forward_progress 1
		.amdhsa_inst_pref_size 8
		.amdhsa_round_robin_scheduling 0
		.amdhsa_exception_fp_ieee_invalid_op 0
		.amdhsa_exception_fp_denorm_src 0
		.amdhsa_exception_fp_ieee_div_zero 0
		.amdhsa_exception_fp_ieee_overflow 0
		.amdhsa_exception_fp_ieee_underflow 0
		.amdhsa_exception_fp_ieee_inexact 0
		.amdhsa_exception_int_div_zero 0
	.end_amdhsa_kernel
	.text
.Lfunc_end0:
	.size	_Z17IntegrationKernelPVfS0_S0_S0_S0_ffffi, .Lfunc_end0-_Z17IntegrationKernelPVfS0_S0_S0_S0_ffffi
                                        ; -- End function
	.set _Z17IntegrationKernelPVfS0_S0_S0_S0_ffffi.num_vgpr, 25
	.set _Z17IntegrationKernelPVfS0_S0_S0_S0_ffffi.num_agpr, 0
	.set _Z17IntegrationKernelPVfS0_S0_S0_S0_ffffi.numbered_sgpr, 18
	.set _Z17IntegrationKernelPVfS0_S0_S0_S0_ffffi.num_named_barrier, 0
	.set _Z17IntegrationKernelPVfS0_S0_S0_S0_ffffi.private_seg_size, 0
	.set _Z17IntegrationKernelPVfS0_S0_S0_S0_ffffi.uses_vcc, 1
	.set _Z17IntegrationKernelPVfS0_S0_S0_S0_ffffi.uses_flat_scratch, 0
	.set _Z17IntegrationKernelPVfS0_S0_S0_S0_ffffi.has_dyn_sized_stack, 0
	.set _Z17IntegrationKernelPVfS0_S0_S0_S0_ffffi.has_recursion, 0
	.set _Z17IntegrationKernelPVfS0_S0_S0_S0_ffffi.has_indirect_call, 0
	.section	.AMDGPU.csdata,"",@progbits
; Kernel info:
; codeLenInByte = 912
; TotalNumSgprs: 20
; NumVgprs: 25
; ScratchSize: 0
; MemoryBound: 0
; FloatMode: 240
; IeeeMode: 1
; LDSByteSize: 0 bytes/workgroup (compile time only)
; SGPRBlocks: 0
; VGPRBlocks: 1
; NumSGPRsForWavesPerEU: 20
; NumVGPRsForWavesPerEU: 25
; NamedBarCnt: 0
; Occupancy: 16
; WaveLimiterHint : 0
; COMPUTE_PGM_RSRC2:SCRATCH_EN: 0
; COMPUTE_PGM_RSRC2:USER_SGPR: 2
; COMPUTE_PGM_RSRC2:TRAP_HANDLER: 0
; COMPUTE_PGM_RSRC2:TGID_X_EN: 1
; COMPUTE_PGM_RSRC2:TGID_Y_EN: 0
; COMPUTE_PGM_RSRC2:TGID_Z_EN: 0
; COMPUTE_PGM_RSRC2:TIDIG_COMP_CNT: 0
	.text
	.p2alignl 7, 3214868480
	.fill 96, 4, 3214868480
	.section	.AMDGPU.gpr_maximums,"",@progbits
	.set amdgpu.max_num_vgpr, 0
	.set amdgpu.max_num_agpr, 0
	.set amdgpu.max_num_sgpr, 0
	.text
	.type	__hip_cuid_129a82ea910c710b,@object ; @__hip_cuid_129a82ea910c710b
	.section	.bss,"aw",@nobits
	.globl	__hip_cuid_129a82ea910c710b
__hip_cuid_129a82ea910c710b:
	.byte	0                               ; 0x0
	.size	__hip_cuid_129a82ea910c710b, 1

	.ident	"AMD clang version 22.0.0git (https://github.com/RadeonOpenCompute/llvm-project roc-7.2.4 26084 f58b06dce1f9c15707c5f808fd002e18c2accf7e)"
	.section	".note.GNU-stack","",@progbits
	.addrsig
	.addrsig_sym __hip_cuid_129a82ea910c710b
	.amdgpu_metadata
---
amdhsa.kernels:
  - .args:
      - .address_space:  global
        .offset:         0
        .size:           8
        .value_kind:     global_buffer
      - .address_space:  global
        .offset:         8
        .size:           8
        .value_kind:     global_buffer
      - .address_space:  global
        .offset:         16
        .size:           8
        .value_kind:     global_buffer
      - .address_space:  global
        .offset:         24
        .size:           8
        .value_kind:     global_buffer
      - .address_space:  global
        .offset:         32
        .size:           8
        .value_kind:     global_buffer
      - .offset:         40
        .size:           4
        .value_kind:     by_value
      - .offset:         44
        .size:           4
        .value_kind:     by_value
      - .offset:         48
        .size:           4
        .value_kind:     by_value
      - .offset:         52
        .size:           4
        .value_kind:     by_value
      - .offset:         56
        .size:           4
        .value_kind:     by_value
      - .offset:         64
        .size:           4
        .value_kind:     hidden_block_count_x
      - .offset:         68
        .size:           4
        .value_kind:     hidden_block_count_y
      - .offset:         72
        .size:           4
        .value_kind:     hidden_block_count_z
      - .offset:         76
        .size:           2
        .value_kind:     hidden_group_size_x
      - .offset:         78
        .size:           2
        .value_kind:     hidden_group_size_y
      - .offset:         80
        .size:           2
        .value_kind:     hidden_group_size_z
      - .offset:         82
        .size:           2
        .value_kind:     hidden_remainder_x
      - .offset:         84
        .size:           2
        .value_kind:     hidden_remainder_y
      - .offset:         86
        .size:           2
        .value_kind:     hidden_remainder_z
      - .offset:         104
        .size:           8
        .value_kind:     hidden_global_offset_x
      - .offset:         112
        .size:           8
        .value_kind:     hidden_global_offset_y
      - .offset:         120
        .size:           8
        .value_kind:     hidden_global_offset_z
      - .offset:         128
        .size:           2
        .value_kind:     hidden_grid_dims
    .group_segment_fixed_size: 0
    .kernarg_segment_align: 8
    .kernarg_segment_size: 320
    .language:       OpenCL C
    .language_version:
      - 2
      - 0
    .max_flat_workgroup_size: 1024
    .name:           _Z17IntegrationKernelPVfS0_S0_S0_S0_ffffi
    .private_segment_fixed_size: 0
    .sgpr_count:     20
    .sgpr_spill_count: 0
    .symbol:         _Z17IntegrationKernelPVfS0_S0_S0_S0_ffffi.kd
    .uniform_work_group_size: 1
    .uses_dynamic_stack: false
    .vgpr_count:     25
    .vgpr_spill_count: 0
    .wavefront_size: 32
amdhsa.target:   amdgcn-amd-amdhsa--gfx1250
amdhsa.version:
  - 1
  - 2
...

	.end_amdgpu_metadata
